;; amdgpu-corpus repo=ROCm/rocFFT kind=compiled arch=gfx950 opt=O3
	.text
	.amdgcn_target "amdgcn-amd-amdhsa--gfx950"
	.amdhsa_code_object_version 6
	.protected	fft_rtc_fwd_len160_factors_4_10_4_wgs_192_tpt_16_sp_op_CI_CI_sbcc_twdbase6_3step_dirReg_intrinsicReadWrite ; -- Begin function fft_rtc_fwd_len160_factors_4_10_4_wgs_192_tpt_16_sp_op_CI_CI_sbcc_twdbase6_3step_dirReg_intrinsicReadWrite
	.globl	fft_rtc_fwd_len160_factors_4_10_4_wgs_192_tpt_16_sp_op_CI_CI_sbcc_twdbase6_3step_dirReg_intrinsicReadWrite
	.p2align	8
	.type	fft_rtc_fwd_len160_factors_4_10_4_wgs_192_tpt_16_sp_op_CI_CI_sbcc_twdbase6_3step_dirReg_intrinsicReadWrite,@function
fft_rtc_fwd_len160_factors_4_10_4_wgs_192_tpt_16_sp_op_CI_CI_sbcc_twdbase6_3step_dirReg_intrinsicReadWrite: ; @fft_rtc_fwd_len160_factors_4_10_4_wgs_192_tpt_16_sp_op_CI_CI_sbcc_twdbase6_3step_dirReg_intrinsicReadWrite
; %bb.0:
	s_load_dwordx8 s[4:11], s[0:1], 0x8
	s_load_dwordx2 s[28:29], s[0:1], 0x28
	s_movk_i32 s3, 0xc0
	v_cmp_gt_u32_e32 vcc, s3, v0
	s_and_saveexec_b64 s[12:13], vcc
	s_cbranch_execz .LBB0_2
; %bb.1:
	v_lshlrev_b32_e32 v1, 3, v0
	s_waitcnt lgkmcnt(0)
	global_load_dwordx2 v[2:3], v1, s[4:5]
	v_add_u32_e32 v1, 0, v1
	s_waitcnt vmcnt(0)
	ds_write_b64 v1, v[2:3] offset:15360
.LBB0_2:
	s_or_b64 exec, exec, s[12:13]
	s_waitcnt lgkmcnt(0)
	s_load_dwordx2 s[4:5], s[8:9], 0x8
	s_mov_b32 s3, 0
	s_mov_b64 s[26:27], 0
	s_waitcnt lgkmcnt(0)
	s_add_u32 s12, s4, -1
	s_addc_u32 s13, s5, -1
	s_add_u32 s14, 0, 0x55540000
	s_addc_u32 s15, 0, 0x55
	s_mul_hi_u32 s17, s14, -12
	s_add_i32 s15, s15, 0x15555500
	s_sub_i32 s17, s17, s14
	s_mul_i32 s20, s15, -12
	s_mul_i32 s16, s14, -12
	s_add_i32 s17, s17, s20
	s_mul_hi_u32 s18, s15, s16
	s_mul_i32 s19, s15, s16
	s_mul_i32 s21, s14, s17
	s_mul_hi_u32 s16, s14, s16
	s_mul_hi_u32 s20, s14, s17
	s_add_u32 s16, s16, s21
	s_addc_u32 s20, 0, s20
	s_add_u32 s16, s16, s19
	s_mul_hi_u32 s21, s15, s17
	s_addc_u32 s16, s20, s18
	s_addc_u32 s18, s21, 0
	s_mul_i32 s17, s15, s17
	s_add_u32 s16, s16, s17
	v_mov_b32_e32 v1, s16
	s_addc_u32 s17, 0, s18
	v_add_co_u32_e32 v1, vcc, s14, v1
	s_cmp_lg_u64 vcc, 0
	s_addc_u32 s14, s15, s17
	v_readfirstlane_b32 s17, v1
	s_mul_i32 s16, s12, s14
	s_mul_hi_u32 s18, s12, s17
	s_mul_hi_u32 s15, s12, s14
	s_add_u32 s16, s18, s16
	s_addc_u32 s15, 0, s15
	s_mul_hi_u32 s19, s13, s17
	s_mul_i32 s17, s13, s17
	s_add_u32 s16, s16, s17
	s_mul_hi_u32 s18, s13, s14
	s_addc_u32 s15, s15, s19
	s_addc_u32 s16, s18, 0
	s_mul_i32 s14, s13, s14
	s_add_u32 s14, s15, s14
	s_addc_u32 s15, 0, s16
	s_add_u32 s16, s14, 1
	s_addc_u32 s17, s15, 0
	s_add_u32 s18, s14, 2
	s_mul_i32 s20, s15, 12
	s_mul_hi_u32 s21, s14, 12
	s_addc_u32 s19, s15, 0
	s_add_i32 s21, s21, s20
	s_mul_i32 s20, s14, 12
	v_mov_b32_e32 v1, s20
	v_sub_co_u32_e32 v1, vcc, s12, v1
	s_cmp_lg_u64 vcc, 0
	s_subb_u32 s12, s13, s21
	v_subrev_co_u32_e32 v2, vcc, 12, v1
	s_cmp_lg_u64 vcc, 0
	s_subb_u32 s13, s12, 0
	v_readfirstlane_b32 s20, v2
	s_cmp_gt_u32 s20, 11
	s_cselect_b32 s20, -1, 0
	s_cmp_eq_u32 s13, 0
	s_cselect_b32 s13, s20, -1
	s_cmp_lg_u32 s13, 0
	s_cselect_b32 s13, s18, s16
	s_cselect_b32 s16, s19, s17
	v_readfirstlane_b32 s17, v1
	s_cmp_gt_u32 s17, 11
	s_cselect_b32 s17, -1, 0
	s_cmp_eq_u32 s12, 0
	s_cselect_b32 s12, s17, -1
	s_cmp_lg_u32 s12, 0
	s_cselect_b32 s13, s13, s14
	s_cselect_b32 s12, s16, s15
	s_add_u32 s30, s13, 1
	s_addc_u32 s31, s12, 0
	v_mov_b64_e32 v[2:3], s[30:31]
	v_cmp_lt_u64_e32 vcc, s[2:3], v[2:3]
	s_cbranch_vccnz .LBB0_4
; %bb.3:
	v_cvt_f32_u32_e32 v1, s30
	s_sub_i32 s12, 0, s30
	s_mov_b32 s27, s3
	v_rcp_iflag_f32_e32 v1, v1
	s_nop 0
	v_mul_f32_e32 v1, 0x4f7ffffe, v1
	v_cvt_u32_f32_e32 v1, v1
	s_nop 0
	v_readfirstlane_b32 s13, v1
	s_mul_i32 s12, s12, s13
	s_mul_hi_u32 s12, s13, s12
	s_add_i32 s13, s13, s12
	s_mul_hi_u32 s12, s2, s13
	s_mul_i32 s14, s12, s30
	s_sub_i32 s14, s2, s14
	s_add_i32 s13, s12, 1
	s_sub_i32 s15, s14, s30
	s_cmp_ge_u32 s14, s30
	s_cselect_b32 s12, s13, s12
	s_cselect_b32 s14, s15, s14
	s_add_i32 s13, s12, 1
	s_cmp_ge_u32 s14, s30
	s_cselect_b32 s26, s13, s12
.LBB0_4:
	s_load_dwordx4 s[12:15], s[0:1], 0x60
	s_load_dwordx2 s[24:25], s[0:1], 0x0
	s_load_dwordx4 s[20:23], s[10:11], 0x0
	s_load_dwordx4 s[16:19], s[28:29], 0x0
	s_mul_i32 s0, s26, s31
	s_mul_hi_u32 s1, s26, s30
	s_add_i32 s1, s1, s0
	s_mul_i32 s0, s26, s30
	s_sub_u32 s0, s2, s0
	s_subb_u32 s1, 0, s1
	s_mul_i32 s1, s1, 12
	s_waitcnt lgkmcnt(0)
	s_mul_hi_u32 s17, s0, 12
	s_add_i32 s35, s17, s1
	s_mul_i32 s34, s0, 12
	s_mul_i32 s0, s22, s35
	s_mul_hi_u32 s1, s22, s34
	s_add_i32 s0, s1, s0
	s_mul_i32 s1, s23, s34
	s_add_i32 s23, s0, s1
	s_mul_i32 s0, s18, s35
	s_mul_hi_u32 s1, s18, s34
	s_add_i32 s0, s1, s0
	s_mul_i32 s1, s19, s34
	s_add_i32 s19, s0, s1
	v_cmp_lt_u64_e64 s[0:1], s[6:7], 3
	s_mul_i32 s21, s22, s34
	s_mul_i32 s17, s18, s34
	s_and_b64 vcc, exec, s[0:1]
	s_cbranch_vccnz .LBB0_14
; %bb.5:
	s_add_u32 s36, s28, 16
	s_addc_u32 s37, s29, 0
	s_add_u32 s38, s10, 16
	s_addc_u32 s39, s11, 0
	;; [unrolled: 2-line block ×3, first 2 shown]
	s_mov_b64 s[40:41], 2
	s_mov_b32 s42, 0
	v_mov_b64_e32 v[2:3], s[6:7]
.LBB0_6:                                ; =>This Inner Loop Header: Depth=1
	s_load_dwordx2 s[44:45], s[8:9], 0x0
	s_waitcnt lgkmcnt(0)
	s_or_b64 s[0:1], s[26:27], s[44:45]
	s_mov_b32 s43, s1
	s_cmp_lg_u64 s[42:43], 0
	s_cbranch_scc0 .LBB0_11
; %bb.7:                                ;   in Loop: Header=BB0_6 Depth=1
	v_cvt_f32_u32_e32 v1, s44
	v_cvt_f32_u32_e32 v4, s45
	s_sub_u32 s0, 0, s44
	s_subb_u32 s1, 0, s45
	v_fmac_f32_e32 v1, 0x4f800000, v4
	v_rcp_f32_e32 v1, v1
	s_nop 0
	v_mul_f32_e32 v1, 0x5f7ffffc, v1
	v_mul_f32_e32 v4, 0x2f800000, v1
	v_trunc_f32_e32 v4, v4
	v_fmac_f32_e32 v1, 0xcf800000, v4
	v_cvt_u32_f32_e32 v4, v4
	v_cvt_u32_f32_e32 v1, v1
	v_readfirstlane_b32 s33, v4
	v_readfirstlane_b32 s43, v1
	s_mul_i32 s46, s0, s33
	s_mul_hi_u32 s48, s0, s43
	s_mul_i32 s47, s1, s43
	s_add_i32 s46, s48, s46
	s_mul_i32 s49, s0, s43
	s_add_i32 s46, s46, s47
	s_mul_hi_u32 s47, s43, s46
	s_mul_i32 s48, s43, s46
	s_mul_hi_u32 s43, s43, s49
	s_add_u32 s43, s43, s48
	s_addc_u32 s47, 0, s47
	s_mul_hi_u32 s50, s33, s49
	s_mul_i32 s49, s33, s49
	s_add_u32 s43, s43, s49
	s_mul_hi_u32 s48, s33, s46
	s_addc_u32 s43, s47, s50
	s_addc_u32 s47, s48, 0
	s_mul_i32 s46, s33, s46
	s_add_u32 s43, s43, s46
	s_addc_u32 s46, 0, s47
	v_add_co_u32_e32 v1, vcc, s43, v1
	s_cmp_lg_u64 vcc, 0
	s_addc_u32 s33, s33, s46
	v_readfirstlane_b32 s46, v1
	s_mul_i32 s43, s0, s33
	s_mul_hi_u32 s47, s0, s46
	s_add_i32 s43, s47, s43
	s_mul_i32 s1, s1, s46
	s_add_i32 s43, s43, s1
	s_mul_i32 s0, s0, s46
	s_mul_hi_u32 s47, s33, s0
	s_mul_i32 s48, s33, s0
	s_mul_i32 s50, s46, s43
	s_mul_hi_u32 s0, s46, s0
	s_mul_hi_u32 s49, s46, s43
	s_add_u32 s0, s0, s50
	s_addc_u32 s46, 0, s49
	s_add_u32 s0, s0, s48
	s_mul_hi_u32 s1, s33, s43
	s_addc_u32 s0, s46, s47
	s_addc_u32 s1, s1, 0
	s_mul_i32 s43, s33, s43
	s_add_u32 s0, s0, s43
	s_addc_u32 s1, 0, s1
	v_add_co_u32_e32 v1, vcc, s0, v1
	s_cmp_lg_u64 vcc, 0
	s_addc_u32 s0, s33, s1
	v_readfirstlane_b32 s43, v1
	s_mul_i32 s33, s26, s0
	s_mul_hi_u32 s46, s26, s43
	s_mul_hi_u32 s1, s26, s0
	s_add_u32 s33, s46, s33
	s_addc_u32 s1, 0, s1
	s_mul_hi_u32 s47, s27, s43
	s_mul_i32 s43, s27, s43
	s_add_u32 s33, s33, s43
	s_mul_hi_u32 s46, s27, s0
	s_addc_u32 s1, s1, s47
	s_addc_u32 s33, s46, 0
	s_mul_i32 s0, s27, s0
	s_add_u32 s43, s1, s0
	s_addc_u32 s33, 0, s33
	s_mul_i32 s0, s44, s33
	s_mul_hi_u32 s1, s44, s43
	s_add_i32 s0, s1, s0
	s_mul_i32 s1, s45, s43
	s_add_i32 s46, s0, s1
	s_mul_i32 s1, s44, s43
	v_mov_b32_e32 v1, s1
	s_sub_i32 s0, s27, s46
	v_sub_co_u32_e32 v1, vcc, s26, v1
	s_cmp_lg_u64 vcc, 0
	s_subb_u32 s47, s0, s45
	v_subrev_co_u32_e64 v4, s[0:1], s44, v1
	s_cmp_lg_u64 s[0:1], 0
	s_subb_u32 s0, s47, 0
	s_cmp_ge_u32 s0, s45
	v_readfirstlane_b32 s47, v4
	s_cselect_b32 s1, -1, 0
	s_cmp_ge_u32 s47, s44
	s_cselect_b32 s47, -1, 0
	s_cmp_eq_u32 s0, s45
	s_cselect_b32 s0, s47, s1
	s_add_u32 s1, s43, 1
	s_addc_u32 s47, s33, 0
	s_add_u32 s48, s43, 2
	s_addc_u32 s49, s33, 0
	s_cmp_lg_u32 s0, 0
	s_cselect_b32 s0, s48, s1
	s_cselect_b32 s1, s49, s47
	s_cmp_lg_u64 vcc, 0
	s_subb_u32 s46, s27, s46
	s_cmp_ge_u32 s46, s45
	v_readfirstlane_b32 s48, v1
	s_cselect_b32 s47, -1, 0
	s_cmp_ge_u32 s48, s44
	s_cselect_b32 s48, -1, 0
	s_cmp_eq_u32 s46, s45
	s_cselect_b32 s46, s48, s47
	s_cmp_lg_u32 s46, 0
	s_cselect_b32 s1, s1, s33
	s_cselect_b32 s0, s0, s43
	s_cbranch_execnz .LBB0_9
.LBB0_8:                                ;   in Loop: Header=BB0_6 Depth=1
	v_cvt_f32_u32_e32 v1, s44
	s_sub_i32 s0, 0, s44
	v_rcp_iflag_f32_e32 v1, v1
	s_nop 0
	v_mul_f32_e32 v1, 0x4f7ffffe, v1
	v_cvt_u32_f32_e32 v1, v1
	s_nop 0
	v_readfirstlane_b32 s1, v1
	s_mul_i32 s0, s0, s1
	s_mul_hi_u32 s0, s1, s0
	s_add_i32 s1, s1, s0
	s_mul_hi_u32 s0, s26, s1
	s_mul_i32 s33, s0, s44
	s_sub_i32 s33, s26, s33
	s_add_i32 s1, s0, 1
	s_sub_i32 s43, s33, s44
	s_cmp_ge_u32 s33, s44
	s_cselect_b32 s0, s1, s0
	s_cselect_b32 s33, s43, s33
	s_add_i32 s1, s0, 1
	s_cmp_ge_u32 s33, s44
	s_cselect_b32 s0, s1, s0
	s_mov_b32 s1, s42
.LBB0_9:                                ;   in Loop: Header=BB0_6 Depth=1
	s_mul_i32 s31, s44, s31
	s_mul_hi_u32 s33, s44, s30
	s_add_i32 s31, s33, s31
	s_mul_i32 s33, s45, s30
	s_add_i32 s31, s31, s33
	s_mul_i32 s33, s0, s45
	s_mul_hi_u32 s43, s0, s44
	s_load_dwordx2 s[46:47], s[38:39], 0x0
	s_add_i32 s33, s43, s33
	s_mul_i32 s43, s1, s44
	s_add_i32 s33, s33, s43
	s_mul_i32 s43, s0, s44
	s_sub_u32 s43, s26, s43
	s_subb_u32 s33, s27, s33
	s_waitcnt lgkmcnt(0)
	s_mul_i32 s26, s46, s33
	s_mul_hi_u32 s27, s46, s43
	s_mul_i32 s30, s44, s30
	s_add_i32 s44, s27, s26
	s_load_dwordx2 s[26:27], s[36:37], 0x0
	s_mul_i32 s45, s47, s43
	s_add_i32 s44, s44, s45
	s_mul_i32 s45, s46, s43
	s_add_u32 s21, s45, s21
	s_addc_u32 s23, s44, s23
	s_waitcnt lgkmcnt(0)
	s_mul_i32 s33, s26, s33
	s_mul_hi_u32 s44, s26, s43
	s_add_i32 s33, s44, s33
	s_mul_i32 s27, s27, s43
	s_add_i32 s33, s33, s27
	s_mul_i32 s26, s26, s43
	s_add_u32 s17, s26, s17
	s_addc_u32 s19, s33, s19
	s_add_u32 s40, s40, 1
	s_addc_u32 s41, s41, 0
	;; [unrolled: 2-line block ×4, first 2 shown]
	s_add_u32 s8, s8, 8
	v_cmp_ge_u64_e32 vcc, s[40:41], v[2:3]
	s_addc_u32 s9, s9, 0
	s_cbranch_vccnz .LBB0_12
; %bb.10:                               ;   in Loop: Header=BB0_6 Depth=1
	s_mov_b64 s[26:27], s[0:1]
	s_branch .LBB0_6
.LBB0_11:                               ;   in Loop: Header=BB0_6 Depth=1
                                        ; implicit-def: $sgpr0_sgpr1
	s_branch .LBB0_8
.LBB0_12:
	v_mov_b64_e32 v[2:3], s[30:31]
	v_cmp_lt_u64_e32 vcc, s[2:3], v[2:3]
	s_mov_b64 s[26:27], 0
	s_cbranch_vccnz .LBB0_14
; %bb.13:
	v_cvt_f32_u32_e32 v1, s30
	s_sub_i32 s0, 0, s30
	v_rcp_iflag_f32_e32 v1, v1
	s_nop 0
	v_mul_f32_e32 v1, 0x4f7ffffe, v1
	v_cvt_u32_f32_e32 v1, v1
	s_nop 0
	v_readfirstlane_b32 s1, v1
	s_mul_i32 s0, s0, s1
	s_mul_hi_u32 s0, s1, s0
	s_add_i32 s1, s1, s0
	s_mul_hi_u32 s0, s2, s1
	s_mul_i32 s3, s0, s30
	s_sub_i32 s2, s2, s3
	s_add_i32 s1, s0, 1
	s_sub_i32 s3, s2, s30
	s_cmp_ge_u32 s2, s30
	s_cselect_b32 s0, s1, s0
	s_cselect_b32 s2, s3, s2
	s_add_i32 s1, s0, 1
	s_cmp_ge_u32 s2, s30
	s_cselect_b32 s26, s1, s0
.LBB0_14:
	s_lshl_b64 s[0:1], s[6:7], 3
	s_add_u32 s2, s10, s0
	s_addc_u32 s3, s11, s1
	s_load_dwordx2 s[2:3], s[2:3], 0x0
	s_waitcnt lgkmcnt(0)
	s_mov_b32 s3, 0x15555556
	v_mul_hi_u32 v62, v0, s3
	v_mul_u32_u24_e32 v1, 12, v62
	v_sub_u32_e32 v22, v0, v1
	s_mul_i32 s2, s2, s26
	s_add_u32 s10, s2, s21
	s_add_u32 s8, s28, s0
	s_addc_u32 s9, s29, s1
	s_add_u32 s0, s34, 12
	v_mov_b32_e32 v23, 0
	s_addc_u32 s1, s35, 0
	v_mov_b64_e32 v[2:3], s[4:5]
	v_lshl_add_u64 v[16:17], s[34:35], 0, v[22:23]
	v_cmp_le_u64_e32 vcc, s[0:1], v[2:3]
	v_mad_u64_u32 v[6:7], s[0:1], s22, v22, 0
	v_cmp_gt_u64_e64 s[0:1], s[4:5], v[16:17]
	s_or_b64 s[6:7], vcc, s[0:1]
	v_mov_b32_e32 v2, v23
	v_mov_b32_e32 v3, v23
	s_and_saveexec_b64 s[2:3], s[6:7]
	s_cbranch_execz .LBB0_16
; %bb.15:
	v_mul_lo_u32 v1, s20, v62
	v_add3_u32 v2, s10, v6, v1
	v_mov_b32_e32 v3, v23
	v_lshl_add_u64 v[2:3], v[2:3], 3, s[12:13]
	global_load_dwordx2 v[2:3], v[2:3], off
.LBB0_16:
	s_or_b64 exec, exec, s[2:3]
	v_add_u32_e32 v64, 40, v62
	v_mov_b32_e32 v5, 0
	s_and_saveexec_b64 s[2:3], s[6:7]
	s_cbranch_execz .LBB0_18
; %bb.17:
	v_mul_lo_u32 v1, s20, v64
	v_add3_u32 v4, s10, v6, v1
	v_mov_b32_e32 v5, 0
	v_lshl_add_u64 v[4:5], v[4:5], 3, s[12:13]
	global_load_dwordx2 v[4:5], v[4:5], off
	s_waitcnt vmcnt(0)
	v_mov_b32_e32 v23, v4
.LBB0_18:
	s_or_b64 exec, exec, s[2:3]
	v_mov_b32_e32 v8, 0
	v_mov_b32_e32 v10, 0
	;; [unrolled: 1-line block ×3, first 2 shown]
	s_and_saveexec_b64 s[2:3], s[6:7]
	s_cbranch_execz .LBB0_20
; %bb.19:
	v_add_u32_e32 v1, 0x50, v62
	v_mul_lo_u32 v1, s20, v1
	v_add3_u32 v10, s10, v6, v1
	v_mov_b32_e32 v11, 0
	v_lshl_add_u64 v[10:11], v[10:11], 3, s[12:13]
	global_load_dwordx2 v[10:11], v[10:11], off
.LBB0_20:
	s_or_b64 exec, exec, s[2:3]
	v_mov_b32_e32 v9, 0
	s_and_saveexec_b64 s[2:3], s[6:7]
	s_cbranch_execz .LBB0_22
; %bb.21:
	v_add_u32_e32 v1, 0x78, v62
	v_mul_lo_u32 v1, s20, v1
	v_add3_u32 v8, s10, v6, v1
	v_mov_b32_e32 v9, 0
	v_lshl_add_u64 v[8:9], v[8:9], 3, s[12:13]
	global_load_dwordx2 v[8:9], v[8:9], off
.LBB0_22:
	s_or_b64 exec, exec, s[2:3]
	v_add_u32_e32 v63, 16, v62
	v_mov_b32_e32 v12, 0
	v_mov_b32_e32 v14, 0
	;; [unrolled: 1-line block ×3, first 2 shown]
	s_and_saveexec_b64 s[2:3], s[6:7]
	s_cbranch_execz .LBB0_24
; %bb.23:
	v_mul_lo_u32 v1, s20, v63
	v_add3_u32 v14, s10, v6, v1
	v_mov_b32_e32 v15, 0
	v_lshl_add_u64 v[14:15], v[14:15], 3, s[12:13]
	global_load_dwordx2 v[14:15], v[14:15], off
.LBB0_24:
	s_or_b64 exec, exec, s[2:3]
	v_mov_b32_e32 v13, 0
	s_and_saveexec_b64 s[2:3], s[6:7]
	s_cbranch_execz .LBB0_26
; %bb.25:
	v_add_u32_e32 v1, 56, v62
	v_mul_lo_u32 v1, s20, v1
	v_add3_u32 v12, s10, v6, v1
	v_mov_b32_e32 v13, 0
	v_lshl_add_u64 v[12:13], v[12:13], 3, s[12:13]
	global_load_dwordx2 v[12:13], v[12:13], off
.LBB0_26:
	s_or_b64 exec, exec, s[2:3]
	v_mov_b32_e32 v18, 0
	v_mov_b32_e32 v20, 0
	;; [unrolled: 1-line block ×3, first 2 shown]
	s_and_saveexec_b64 s[2:3], s[6:7]
	s_cbranch_execz .LBB0_28
; %bb.27:
	v_or_b32_e32 v1, 0x60, v62
	v_mul_lo_u32 v1, s20, v1
	v_add3_u32 v20, s10, v6, v1
	v_mov_b32_e32 v21, 0
	v_lshl_add_u64 v[20:21], v[20:21], 3, s[12:13]
	global_load_dwordx2 v[20:21], v[20:21], off
.LBB0_28:
	s_or_b64 exec, exec, s[2:3]
	v_mov_b32_e32 v19, 0
	s_and_saveexec_b64 s[2:3], s[6:7]
	s_cbranch_execz .LBB0_30
; %bb.29:
	v_add_u32_e32 v1, 0x88, v62
	v_mul_lo_u32 v1, s20, v1
	v_add3_u32 v18, s10, v6, v1
	v_mov_b32_e32 v19, 0
	v_lshl_add_u64 v[18:19], v[18:19], 3, s[12:13]
	global_load_dwordx2 v[18:19], v[18:19], off
.LBB0_30:
	s_or_b64 exec, exec, s[2:3]
	s_movk_i32 s4, 0x60
	s_movk_i32 s2, 0x5f
	v_cmp_lt_u32_e64 s[2:3], s2, v0
	v_cmp_gt_u32_e64 s[4:5], s4, v0
	v_cndmask_b32_e64 v4, 0, 1, s[0:1]
	s_or_b64 vcc, s[2:3], vcc
	v_cndmask_b32_e64 v1, 0, 1, s[4:5]
	v_cndmask_b32_e32 v1, v4, v1, vcc
	v_and_b32_e32 v1, 1, v1
	v_or_b32_e32 v17, 32, v62
	v_cmp_eq_u32_e32 vcc, 1, v1
	v_mov_b32_e32 v24, 0
	v_mov_b32_e32 v26, 0
	;; [unrolled: 1-line block ×3, first 2 shown]
	s_and_saveexec_b64 s[0:1], vcc
	s_cbranch_execz .LBB0_32
; %bb.31:
	v_mul_lo_u32 v1, s20, v17
	v_add3_u32 v26, s10, v6, v1
	v_mov_b32_e32 v27, 0
	v_lshl_add_u64 v[26:27], v[26:27], 3, s[12:13]
	global_load_dwordx2 v[26:27], v[26:27], off
.LBB0_32:
	s_or_b64 exec, exec, s[0:1]
	v_mov_b32_e32 v25, 0
	s_and_saveexec_b64 s[0:1], vcc
	s_cbranch_execz .LBB0_34
; %bb.33:
	v_add_u32_e32 v1, 0x48, v62
	v_mul_lo_u32 v1, s20, v1
	v_add3_u32 v24, s10, v6, v1
	v_mov_b32_e32 v25, 0
	v_lshl_add_u64 v[24:25], v[24:25], 3, s[12:13]
	global_load_dwordx2 v[24:25], v[24:25], off
.LBB0_34:
	s_or_b64 exec, exec, s[0:1]
	v_mov_b32_e32 v28, 0
	v_mov_b32_e32 v30, 0
	;; [unrolled: 1-line block ×3, first 2 shown]
	s_and_saveexec_b64 s[0:1], vcc
	s_cbranch_execz .LBB0_36
; %bb.35:
	v_add_u32_e32 v1, 0x70, v62
	v_mul_lo_u32 v1, s20, v1
	v_add3_u32 v30, s10, v6, v1
	v_mov_b32_e32 v31, 0
	v_lshl_add_u64 v[30:31], v[30:31], 3, s[12:13]
	global_load_dwordx2 v[30:31], v[30:31], off
.LBB0_36:
	s_or_b64 exec, exec, s[0:1]
	v_mov_b32_e32 v29, 0
	s_and_saveexec_b64 s[0:1], vcc
	s_cbranch_execz .LBB0_38
; %bb.37:
	v_add_u32_e32 v1, 0x98, v62
	v_mul_lo_u32 v1, s20, v1
	v_add3_u32 v6, s10, v6, v1
	v_mov_b32_e32 v7, 0
	v_lshl_add_u64 v[6:7], v[6:7], 3, s[12:13]
	global_load_dwordx2 v[28:29], v[6:7], off
.LBB0_38:
	s_or_b64 exec, exec, s[0:1]
	s_waitcnt vmcnt(0)
	v_pk_add_f32 v[38:39], v[12:13], v[18:19] neg_lo:[0,1] neg_hi:[0,1]
	v_pk_add_f32 v[18:19], v[24:25], v[28:29] neg_lo:[0,1] neg_hi:[0,1]
	v_mov_b32_e32 v4, v23
	v_pk_add_f32 v[32:33], v[2:3], v[10:11] neg_lo:[0,1] neg_hi:[0,1]
	v_pk_add_f32 v[6:7], v[26:27], v[30:31] neg_lo:[0,1] neg_hi:[0,1]
	v_add_f32_e32 v11, v25, v25
	v_mov_b32_e32 v10, v24
	v_mov_b32_e32 v29, v19
	v_pk_add_f32 v[34:35], v[4:5], v[8:9] neg_lo:[0,1] neg_hi:[0,1]
	v_pk_fma_f32 v[8:9], v[26:27], 2.0, v[6:7] op_sel_hi:[1,0,1] neg_lo:[0,0,1] neg_hi:[0,0,1]
	v_pk_add_f32 v[10:11], v[10:11], v[28:29] neg_lo:[0,1] neg_hi:[0,1]
	v_pk_add_f32 v[36:37], v[14:15], v[20:21] neg_lo:[0,1] neg_hi:[0,1]
	v_fma_f32 v18, v24, 2.0, -v10
	v_mov_b32_e32 v20, v8
	v_mov_b32_e32 v21, v6
	v_pk_add_f32 v[18:19], v[20:21], v[18:19] neg_lo:[0,1] neg_hi:[0,1]
	v_mov_b32_e32 v20, v7
	v_pk_add_f32 v[20:21], v[20:21], v[10:11]
	v_pk_add_f32 v[10:11], v[8:9], v[10:11] neg_lo:[0,1] neg_hi:[0,1]
	v_mul_u32_u24_e32 v1, 48, v62
	v_pk_fma_f32 v[2:3], v[2:3], 2.0, v[32:33] op_sel_hi:[1,0,1] neg_lo:[0,0,1] neg_hi:[0,0,1]
	v_pk_fma_f32 v[4:5], v[4:5], 2.0, v[34:35] op_sel_hi:[1,0,1] neg_lo:[0,0,1] neg_hi:[0,0,1]
	v_pk_add_f32 v[24:25], v[32:33], v[34:35] op_sel:[0,1] op_sel_hi:[1,0] neg_lo:[0,1] neg_hi:[0,1]
	v_pk_add_f32 v[26:27], v[32:33], v[34:35] op_sel:[0,1] op_sel_hi:[1,0]
	s_load_dwordx2 s[4:5], s[8:9], 0x0
	v_lshl_add_u32 v1, v1, 3, 0
	v_lshlrev_b32_e32 v10, 3, v22
	v_pk_add_f32 v[4:5], v[2:3], v[4:5] neg_lo:[0,1] neg_hi:[0,1]
	v_mov_b32_e32 v25, v27
	v_mov_b32_e32 v21, v11
	v_add_u32_e32 v11, v1, v10
	v_pk_fma_f32 v[2:3], v[2:3], 2.0, v[4:5] op_sel_hi:[1,0,1] neg_lo:[0,0,1] neg_hi:[0,0,1]
	v_pk_fma_f32 v[26:27], v[32:33], 2.0, v[24:25] op_sel_hi:[1,0,1] neg_lo:[0,0,1] neg_hi:[0,0,1]
	ds_write2_b64 v11, v[2:3], v[26:27] offset1:12
	ds_write2_b64 v11, v[4:5], v[24:25] offset0:24 offset1:36
	v_pk_fma_f32 v[4:5], v[14:15], 2.0, v[36:37] op_sel_hi:[1,0,1] neg_lo:[0,0,1] neg_hi:[0,0,1]
	v_pk_fma_f32 v[12:13], v[12:13], 2.0, v[38:39] op_sel_hi:[1,0,1] neg_lo:[0,0,1] neg_hi:[0,0,1]
	v_pk_add_f32 v[14:15], v[36:37], v[38:39] op_sel:[0,1] op_sel_hi:[1,0] neg_lo:[0,1] neg_hi:[0,1]
	v_pk_add_f32 v[24:25], v[36:37], v[38:39] op_sel:[0,1] op_sel_hi:[1,0]
	v_add_u32_e32 v2, 0x1800, v1
	v_pk_add_f32 v[12:13], v[4:5], v[12:13] neg_lo:[0,1] neg_hi:[0,1]
	v_mov_b32_e32 v15, v25
	s_movk_i32 s0, 0x5f
	s_movk_i32 s2, 0x60
	v_add_u32_e32 v3, v2, v10
	v_pk_fma_f32 v[4:5], v[4:5], 2.0, v[12:13] op_sel_hi:[1,0,1] neg_lo:[0,0,1] neg_hi:[0,0,1]
	v_pk_fma_f32 v[24:25], v[36:37], 2.0, v[14:15] op_sel_hi:[1,0,1] neg_lo:[0,0,1] neg_hi:[0,0,1]
	v_cmp_lt_u32_e64 s[0:1], s0, v0
	v_cmp_gt_u32_e64 s[2:3], s2, v0
	ds_write2_b64 v3, v[4:5], v[24:25] offset1:12
	ds_write2_b64 v3, v[12:13], v[14:15] offset0:24 offset1:36
	s_and_saveexec_b64 s[8:9], s[2:3]
	s_cbranch_execz .LBB0_40
; %bb.39:
	v_lshl_add_u32 v0, v22, 3, v2
	v_mov_b32_e32 v4, v18
	v_mov_b32_e32 v5, v21
	;; [unrolled: 1-line block ×4, first 2 shown]
	v_pk_fma_f32 v[8:9], v[8:9], 2.0, v[4:5] op_sel_hi:[1,0,1] neg_lo:[0,0,1] neg_hi:[0,0,1]
	v_pk_fma_f32 v[6:7], v[6:7], 2.0, v[12:13] op_sel_hi:[1,0,1] neg_lo:[0,0,1] neg_hi:[0,0,1]
	v_add_u32_e32 v0, 0x1800, v0
	ds_write2_b64 v0, v[8:9], v[6:7] offset1:12
	ds_write2_b64 v0, v[4:5], v[12:13] offset0:24 offset1:36
.LBB0_40:
	s_or_b64 exec, exec, s[8:9]
	v_and_b32_e32 v3, 3, v62
	v_mul_u32_u24_e32 v0, 9, v3
	v_lshlrev_b32_e32 v0, 3, v0
	s_waitcnt lgkmcnt(0)
	s_barrier
	global_load_dwordx4 v[4:7], v0, s[24:25] offset:48
	global_load_dwordx4 v[12:15], v0, s[24:25]
	global_load_dwordx4 v[24:27], v0, s[24:25] offset:16
	global_load_dwordx4 v[28:31], v0, s[24:25] offset:32
	global_load_dwordx2 v[8:9], v0, s[24:25] offset:64
	v_mul_i32_i24_e32 v0, 0xfffffee0, v62
	v_mul_i32_i24_e32 v11, 0xfffffee0, v63
	v_add3_u32 v0, v1, v0, v10
	v_add3_u32 v1, v2, v11, v10
	ds_read2st64_b64 v[32:35], v1 offset1:3
	ds_read2st64_b64 v[36:39], v0 offset1:9
	ds_read2st64_b64 v[40:43], v0 offset0:12 offset1:15
	ds_read2st64_b64 v[44:47], v0 offset0:18 offset1:21
	;; [unrolled: 1-line block ×3, first 2 shown]
	v_lshrrev_b32_e32 v23, 2, v62
	v_mul_u32_u24_e32 v2, 40, v23
	v_or_b32_e32 v2, v2, v3
	v_mul_u32_u24_e32 v2, 0x60, v2
	v_add3_u32 v23, 0, v2, v10
	s_waitcnt lgkmcnt(1)
	v_mov_b32_e32 v2, v47
	s_waitcnt lgkmcnt(0)
	v_mov_b32_e32 v10, v51
	s_mov_b32 s10, 0x3f737871
	s_mov_b32 s11, 0xbf737871
	s_mov_b32 s2, 0x3f167918
	s_mov_b32 s8, 0x3e9e377a
	s_mov_b32 s12, 0x3f4f1bbd
	s_barrier
	s_waitcnt vmcnt(4)
	v_mov_b32_e32 v54, v5
	s_waitcnt vmcnt(3)
	v_pk_mul_f32 v[56:57], v[12:13], v[32:33] op_sel:[0,1]
	v_pk_mul_f32 v[58:59], v[14:15], v[34:35] op_sel:[0,1]
	s_waitcnt vmcnt(2)
	v_pk_mul_f32 v[60:61], v[24:25], v[38:39] op_sel:[0,1]
	s_waitcnt vmcnt(0)
	v_mov_b32_e32 v72, v9
	v_mov_b32_e32 v74, v31
	v_mov_b32_e32 v76, v7
	v_pk_mul_f32 v[52:53], v[46:47], v[4:5]
	v_pk_mul_f32 v[66:67], v[26:27], v[40:41] op_sel:[0,1]
	v_pk_mul_f32 v[70:71], v[50:51], v[8:9]
	v_pk_fma_f32 v[78:79], v[12:13], v[32:33], v[56:57] op_sel:[0,0,1] op_sel_hi:[1,1,0] neg_lo:[0,0,1] neg_hi:[0,0,1]
	v_pk_fma_f32 v[12:13], v[12:13], v[32:33], v[56:57] op_sel:[0,0,1] op_sel_hi:[1,0,0]
	v_pk_fma_f32 v[32:33], v[14:15], v[34:35], v[58:59] op_sel:[0,0,1] op_sel_hi:[1,1,0] neg_lo:[0,0,1] neg_hi:[0,0,1]
	v_pk_fma_f32 v[14:15], v[14:15], v[34:35], v[58:59] op_sel:[0,0,1] op_sel_hi:[1,0,0]
	;; [unrolled: 2-line block ×3, first 2 shown]
	v_pk_mul_f32 v[46:47], v[46:47], v[54:55]
	v_pk_mul_f32 v[50:51], v[50:51], v[72:73]
	v_pk_mul_f32 v[54:55], v[44:45], v[74:75] op_sel_hi:[1,0]
	v_pk_mul_f32 v[56:57], v[48:49], v[76:77] op_sel_hi:[1,0]
	v_pk_mul_f32 v[68:69], v[28:29], v[42:43] op_sel:[0,1]
	v_pk_fma_f32 v[38:39], v[26:27], v[40:41], v[66:67] op_sel:[0,0,1] op_sel_hi:[1,1,0] neg_lo:[0,0,1] neg_hi:[0,0,1]
	v_pk_fma_f32 v[26:27], v[26:27], v[40:41], v[66:67] op_sel:[0,0,1] op_sel_hi:[1,0,0]
	v_pk_fma_f32 v[8:9], v[10:11], v[8:9], v[50:51]
	v_mov_b32_e32 v79, v13
	v_mov_b32_e32 v35, v25
	v_pk_fma_f32 v[10:11], v[44:45], v[30:31], v[54:55] op_sel:[0,0,1] op_sel_hi:[1,1,0] neg_lo:[0,0,1] neg_hi:[0,0,1]
	v_pk_fma_f32 v[12:13], v[44:45], v[30:31], v[54:55] op_sel:[0,0,1] op_sel_hi:[1,0,0]
	v_pk_fma_f32 v[24:25], v[48:49], v[6:7], v[56:57] op_sel:[0,0,1] op_sel_hi:[1,1,0] neg_lo:[0,0,1] neg_hi:[0,0,1]
	v_pk_fma_f32 v[6:7], v[48:49], v[6:7], v[56:57] op_sel:[0,0,1] op_sel_hi:[1,0,0]
	;; [unrolled: 2-line block ×3, first 2 shown]
	v_mov_b32_e32 v42, v70
	v_mov_b32_e32 v43, v52
	;; [unrolled: 1-line block ×15, first 2 shown]
	v_pk_fma_f32 v[2:3], v[2:3], v[4:5], v[46:47]
	v_pk_add_f32 v[4:5], v[42:43], v[52:53] neg_lo:[0,1] neg_hi:[0,1]
	v_pk_add_f32 v[44:45], v[14:15], v[6:7] neg_lo:[0,1] neg_hi:[0,1]
	;; [unrolled: 1-line block ×4, first 2 shown]
	v_pk_add_f32 v[12:13], v[36:37], v[32:33]
	v_mov_b32_e32 v3, v5
	v_mov_b32_e32 v9, v4
	v_pk_add_f32 v[12:13], v[12:13], v[38:39]
	v_mov_b32_e32 v41, v29
	v_pk_add_f32 v[28:29], v[78:79], v[34:35]
	v_mov_b32_e32 v30, v5
	v_mov_b32_e32 v31, v2
	;; [unrolled: 1-line block ×3, first 2 shown]
	v_pk_add_f32 v[2:3], v[2:3], v[8:9] neg_lo:[0,1] neg_hi:[0,1]
	v_pk_add_f32 v[8:9], v[32:33], v[24:25]
	v_pk_add_f32 v[12:13], v[12:13], v[10:11]
	;; [unrolled: 1-line block ×3, first 2 shown]
	v_pk_add_f32 v[32:33], v[32:33], v[38:39] neg_lo:[0,1] neg_hi:[0,1]
	v_pk_add_f32 v[10:11], v[24:25], v[10:11] neg_lo:[0,1] neg_hi:[0,1]
	v_pk_add_f32 v[28:29], v[28:29], v[40:41]
	v_pk_add_f32 v[12:13], v[12:13], v[24:25]
	;; [unrolled: 1-line block ×4, first 2 shown]
	v_pk_add_f32 v[32:33], v[34:35], v[4:5] neg_lo:[0,1] neg_hi:[0,1]
	v_pk_add_f32 v[42:43], v[40:41], v[34:35] neg_lo:[0,1] neg_hi:[0,1]
	v_pk_add_f32 v[28:29], v[28:29], v[30:31]
	v_pk_add_f32 v[50:51], v[4:5], v[30:31] neg_lo:[0,1] neg_hi:[0,1]
	v_pk_fma_f32 v[24:25], v[24:25], 0.5, v[78:79] op_sel_hi:[1,0,1] neg_lo:[1,0,0] neg_hi:[1,0,0]
	v_pk_mul_f32 v[38:39], v[32:33], s[10:11] op_sel_hi:[1,0]
	v_pk_add_f32 v[30:31], v[40:41], v[30:31] neg_lo:[0,1] neg_hi:[0,1]
	v_pk_add_f32 v[40:41], v[34:35], v[40:41] neg_lo:[0,1] neg_hi:[0,1]
	v_pk_mul_f32 v[54:55], v[30:31], s[2:3] op_sel_hi:[1,0]
	v_pk_add_f32 v[40:41], v[40:41], v[50:51]
	v_pk_add_f32 v[50:51], v[24:25], v[38:39] op_sel:[0,1] op_sel_hi:[1,0]
	v_pk_add_f32 v[24:25], v[24:25], v[38:39] op_sel:[0,1] op_sel_hi:[1,0] neg_lo:[0,1] neg_hi:[0,1]
	v_pk_add_f32 v[50:51], v[50:51], v[54:55] op_sel:[0,1] op_sel_hi:[1,0]
	v_pk_add_f32 v[38:39], v[24:25], v[54:55] op_sel:[0,1] op_sel_hi:[1,0] neg_lo:[0,1] neg_hi:[0,1]
	v_mov_b32_e32 v24, v50
	v_mov_b32_e32 v25, v39
	v_pk_fma_f32 v[24:25], v[40:41], s[8:9], v[24:25] op_sel_hi:[1,0,1]
	v_pk_fma_f32 v[8:9], v[8:9], 0.5, v[36:37] op_sel_hi:[1,0,1] neg_lo:[1,0,0] neg_hi:[1,0,0]
	v_pk_mul_f32 v[54:55], v[24:25], s[2:3] op_sel_hi:[1,0]
	v_pk_add_f32 v[14:15], v[26:27], v[14:15] neg_lo:[0,1] neg_hi:[0,1]
	v_pk_fma_f32 v[56:57], v[24:25], s[12:13], v[54:55] op_sel:[0,0,1] op_sel_hi:[1,0,0]
	v_pk_fma_f32 v[24:25], v[24:25], s[12:13], v[54:55] op_sel:[0,0,1] op_sel_hi:[1,0,0] neg_lo:[0,0,1] neg_hi:[0,0,1]
	v_pk_add_f32 v[6:7], v[14:15], v[6:7]
	v_pk_fma_f32 v[14:15], v[46:47], s[10:11], v[8:9] op_sel_hi:[1,0,1]
	v_pk_fma_f32 v[8:9], v[46:47], s[10:11], v[8:9] op_sel_hi:[1,0,1] neg_lo:[1,0,0] neg_hi:[1,0,0]
	v_mov_b32_e32 v57, v25
	v_pk_fma_f32 v[24:25], v[52:53], 0.5, v[36:37] op_sel_hi:[1,0,1] neg_lo:[1,0,0] neg_hi:[1,0,0]
	v_pk_fma_f32 v[8:9], v[44:45], s[2:3], v[8:9] op_sel_hi:[1,0,1]
	v_pk_fma_f32 v[14:15], v[44:45], s[2:3], v[14:15] op_sel_hi:[1,0,1] neg_lo:[1,0,0] neg_hi:[1,0,0]
	v_pk_fma_f32 v[36:37], v[44:45], s[10:11], v[24:25] op_sel_hi:[1,0,1]
	v_pk_fma_f32 v[24:25], v[44:45], s[10:11], v[24:25] op_sel_hi:[1,0,1] neg_lo:[1,0,0] neg_hi:[1,0,0]
	v_pk_add_f32 v[28:29], v[28:29], v[4:5]
	v_pk_mul_f32 v[6:7], v[6:7], s[8:9] op_sel_hi:[1,0]
	v_mov_b32_e32 v26, v14
	v_mov_b32_e32 v27, v9
	v_pk_fma_f32 v[44:45], v[46:47], s[2:3], v[24:25] op_sel_hi:[1,0,1] neg_lo:[1,0,0] neg_hi:[1,0,0]
	v_pk_fma_f32 v[36:37], v[46:47], s[2:3], v[36:37] op_sel_hi:[1,0,1]
	v_pk_add_f32 v[4:5], v[34:35], v[4:5]
	v_mov_b32_e32 v9, v15
	v_pk_add_f32 v[26:27], v[6:7], v[26:27] op_sel:[1,0] op_sel_hi:[0,1]
	v_mov_b32_e32 v24, v36
	v_mov_b32_e32 v25, v45
	v_pk_fma_f32 v[4:5], v[4:5], 0.5, v[78:79] op_sel_hi:[1,0,1] neg_lo:[1,0,0] neg_hi:[1,0,0]
	v_pk_add_f32 v[6:7], v[6:7], v[8:9] op_sel:[1,0] op_sel_hi:[0,1]
	v_pk_mul_f32 v[8:9], v[30:31], s[10:11] op_sel_hi:[1,0]
	v_pk_fma_f32 v[46:47], v[10:11], s[8:9], v[24:25] op_sel_hi:[1,0,1]
	v_pk_mul_f32 v[24:25], v[32:33], s[2:3] op_sel_hi:[1,0]
	v_pk_add_f32 v[14:15], v[8:9], v[4:5] op_sel:[1,0] op_sel_hi:[0,1]
	v_pk_add_f32 v[4:5], v[4:5], v[8:9] op_sel:[0,1] op_sel_hi:[1,0] neg_lo:[0,1] neg_hi:[0,1]
	v_pk_add_f32 v[2:3], v[42:43], v[2:3] op_sel:[1,0] op_sel_hi:[0,1]
	v_pk_add_f32 v[8:9], v[4:5], v[24:25] op_sel:[0,1] op_sel_hi:[1,0]
	v_mov_b32_e32 v4, v5
	v_mov_b32_e32 v5, v14
	v_pk_add_f32 v[24:25], v[14:15], v[24:25] op_sel:[0,1] op_sel_hi:[1,0] neg_lo:[0,1] neg_hi:[0,1]
	v_pk_fma_f32 v[14:15], v[32:33], s[2:3], v[4:5] op_sel_hi:[1,0,1]
	v_pk_fma_f32 v[4:5], v[32:33], s[2:3], v[4:5] op_sel_hi:[1,0,1] neg_lo:[1,0,0] neg_hi:[1,0,0]
	v_pk_mul_f32 v[42:43], v[2:3], s[8:9] op_sel_hi:[1,0]
	v_mov_b32_e32 v15, v5
	v_mov_b32_e32 v9, v25
	v_pk_fma_f32 v[2:3], v[2:3], s[8:9], v[14:15] op_sel_hi:[1,0,1]
	v_pk_add_f32 v[8:9], v[42:43], v[8:9] op_sel:[1,0] op_sel_hi:[0,1]
	v_pk_mul_f32 v[4:5], v[2:3], s[8:9] op_sel_hi:[1,0]
	v_mov_b32_e32 v39, v51
	v_pk_fma_f32 v[2:3], v[2:3], s[10:11], v[4:5] op_sel:[0,0,1] op_sel_hi:[1,1,0] neg_lo:[0,0,1] neg_hi:[0,0,1]
	v_pk_mul_f32 v[4:5], v[8:9], s[10:11] op_sel_hi:[1,0]
	v_pk_add_f32 v[24:25], v[26:27], v[2:3] neg_lo:[0,1] neg_hi:[0,1]
	v_pk_fma_f32 v[14:15], v[8:9], s[8:9], v[4:5] op_sel:[0,0,1] op_sel_hi:[1,0,0]
	v_pk_fma_f32 v[4:5], v[8:9], s[8:9], v[4:5] op_sel:[0,0,1] op_sel_hi:[1,0,0] neg_lo:[0,0,1] neg_hi:[0,0,1]
	v_pk_add_f32 v[2:3], v[26:27], v[2:3]
	v_mov_b32_e32 v15, v5
	v_pk_add_f32 v[4:5], v[6:7], v[14:15]
	ds_write2_b64 v23, v[4:5], v[2:3] offset0:96 offset1:144
	v_pk_fma_f32 v[2:3], v[40:41], s[8:9], v[38:39] op_sel_hi:[1,0,1]
	s_mov_b32 s10, 0xbf167918
	s_mov_b32 s11, s2
	v_pk_mul_f32 v[4:5], v[2:3], s[12:13] op_sel_hi:[1,0]
	v_mov_b32_e32 v45, v37
	v_pk_fma_f32 v[2:3], v[2:3], s[10:11], v[4:5] op_sel:[0,0,1] op_sel_hi:[1,1,0] neg_lo:[0,0,1] neg_hi:[0,0,1]
	v_pk_fma_f32 v[4:5], v[10:11], s[8:9], v[44:45] op_sel_hi:[1,0,1]
	v_pk_add_f32 v[10:11], v[12:13], v[28:29] neg_lo:[0,1] neg_hi:[0,1]
	v_pk_add_f32 v[8:9], v[4:5], v[2:3] op_sel:[0,1] op_sel_hi:[1,0]
	v_pk_add_f32 v[48:49], v[12:13], v[28:29]
	v_pk_add_f32 v[52:53], v[46:47], v[56:57]
	ds_write2_b64 v23, v[8:9], v[10:11] offset0:192 offset1:240
	v_pk_add_f32 v[8:9], v[46:47], v[56:57] neg_lo:[0,1] neg_hi:[0,1]
	v_pk_add_f32 v[6:7], v[6:7], v[14:15] neg_lo:[0,1] neg_hi:[0,1]
	v_add_u32_e32 v10, 0x800, v23
	v_pk_add_f32 v[26:27], v[4:5], v[2:3] op_sel:[0,1] op_sel_hi:[1,0] neg_lo:[0,1] neg_hi:[0,1]
	v_add_u32_e32 v2, 0x100, v0
	ds_write2_b64 v23, v[48:49], v[52:53] offset1:48
	ds_write2_b64 v10, v[8:9], v[6:7] offset0:32 offset1:80
	ds_write2_b64 v10, v[24:25], v[26:27] offset0:128 offset1:176
	s_waitcnt lgkmcnt(0)
	s_barrier
	ds_read2st64_b64 v[4:7], v2 offset0:7 offset1:10
	ds_read2st64_b64 v[12:15], v0 offset0:15 offset1:18
	ds_read2st64_b64 v[8:11], v2 offset0:22 offset1:25
	ds_read_b64 v[30:31], v0
	ds_read_b64 v[58:59], v1
	s_and_saveexec_b64 s[2:3], s[0:1]
	s_xor_b64 s[0:1], exec, s[2:3]
; %bb.41:
                                        ; implicit-def: $vgpr1
                                        ; implicit-def: $vgpr0
; %bb.42:
	s_andn2_saveexec_b64 s[0:1], s[0:1]
	s_cbranch_execz .LBB0_44
; %bb.43:
	ds_read_b64 v[18:19], v0 offset:10752
	ds_read_b64 v[2:3], v0 offset:14592
	v_add_u32_e32 v1, 0x600, v1
	ds_read_b64 v[24:25], v1
	ds_read_b64 v[26:27], v0 offset:6912
	s_waitcnt lgkmcnt(3)
	v_mov_b32_e32 v21, v19
	s_waitcnt lgkmcnt(2)
	v_mov_b32_e32 v20, v3
	v_mov_b32_e32 v19, v2
.LBB0_44:
	s_or_b64 exec, exec, s[0:1]
	s_mov_b32 s3, 0x6666667
	v_mul_hi_u32 v65, v17, s3
	v_mul_u32_u24_e32 v0, 40, v65
	v_sub_u32_e32 v23, v17, v0
	v_mul_i32_i24_e32 v32, 3, v23
	v_mov_b32_e32 v33, 0
	v_lshl_add_u64 v[34:35], v[32:33], 3, s[24:25]
	global_load_dwordx2 v[28:29], v[34:35], off offset:304
	global_load_dwordx4 v[0:3], v[34:35], off offset:288
	v_mul_lo_u32 v23, v23, v16
	v_mul_lo_u32 v46, v16, 40
	v_and_b32_e32 v32, 63, v23
	v_lshrrev_b32_e32 v34, 3, v23
	v_lshrrev_b32_e32 v35, 9, v23
	v_add_u32_e32 v23, v23, v46
	s_add_i32 s5, 0, 0x3c00
	v_and_b32_e32 v34, 0x1f8, v34
	v_and_b32_e32 v35, 0x1f8, v35
	;; [unrolled: 1-line block ×3, first 2 shown]
	v_lshl_add_u32 v32, v32, 3, 0
	v_add_u32_e32 v34, s5, v34
	v_add_u32_e32 v35, s5, v35
	v_lshl_add_u32 v38, v36, 3, 0
	ds_read_b64 v[42:43], v32 offset:15360
	ds_read_b64 v[44:45], v34 offset:512
	;; [unrolled: 1-line block ×4, first 2 shown]
	v_lshrrev_b32_e32 v32, 3, v23
	v_lshrrev_b32_e32 v38, 9, v23
	v_add_u32_e32 v23, v23, v46
	v_lshrrev_b32_e32 v40, 3, v23
	v_and_b32_e32 v32, 0x1f8, v32
	v_and_b32_e32 v38, 0x1f8, v38
	;; [unrolled: 1-line block ×4, first 2 shown]
	v_add_u32_e32 v32, s5, v32
	v_add_u32_e32 v38, s5, v38
	v_lshl_add_u32 v39, v39, 3, 0
	v_add_u32_e32 v40, s5, v40
	ds_read_b64 v[52:53], v32 offset:512
	ds_read_b64 v[48:49], v38 offset:1024
	;; [unrolled: 1-line block ×4, first 2 shown]
	v_lshrrev_b32_e32 v32, 9, v23
	v_add_u32_e32 v23, v23, v46
	v_lshrrev_b32_e32 v47, 3, v23
	v_and_b32_e32 v32, 0x1f8, v32
	v_and_b32_e32 v46, 63, v23
	v_and_b32_e32 v47, 0x1f8, v47
	v_lshrrev_b32_e32 v23, 9, v23
	v_add_u32_e32 v32, s5, v32
	v_lshl_add_u32 v46, v46, 3, 0
	v_add_u32_e32 v47, s5, v47
	v_and_b32_e32 v23, 0x1f8, v23
	v_add_u32_e32 v23, s5, v23
	ds_read_b64 v[56:57], v32 offset:1024
	ds_read_b64 v[50:51], v46 offset:15360
	;; [unrolled: 1-line block ×4, first 2 shown]
	s_mul_i32 s0, s4, s26
	s_add_u32 s2, s0, s17
	v_mad_u64_u32 v[22:23], s[0:1], s18, v22, 0
	s_and_saveexec_b64 s[0:1], s[6:7]
	s_cbranch_execnz .LBB0_47
; %bb.45:
	s_or_b64 exec, exec, s[0:1]
	s_and_saveexec_b64 s[0:1], vcc
	s_cbranch_execnz .LBB0_48
.LBB0_46:
	s_endpgm
.LBB0_47:
	v_mul_hi_u32 v23, v63, s3
	v_mul_u32_u24_e32 v32, 40, v23
	v_sub_u32_e32 v72, v63, v32
	v_mul_i32_i24_e32 v32, 3, v72
	v_lshl_add_u64 v[60:61], v[32:33], 3, s[24:25]
	global_load_dwordx4 v[66:69], v[60:61], off offset:288
	global_load_dwordx2 v[70:71], v[60:61], off offset:304
	s_movk_i32 s4, 0xffd8
	v_add_u32_e32 v32, 0x78, v72
	v_mul_lo_u32 v86, v16, s4
	v_mul_lo_u32 v32, v32, v16
	;; [unrolled: 1-line block ×3, first 2 shown]
	v_lshrrev_b32_e32 v61, 9, v32
	v_and_b32_e32 v72, 63, v32
	v_lshrrev_b32_e32 v73, 3, v32
	v_add_u32_e32 v32, v32, v86
	v_lshrrev_b32_e32 v60, 9, v87
	v_and_b32_e32 v61, 0x1f8, v61
	v_lshl_add_u32 v74, v72, 3, 0
	v_and_b32_e32 v72, 0x1f8, v73
	v_lshrrev_b32_e32 v73, 9, v32
	v_and_b32_e32 v60, 0x1f8, v60
	v_and_b32_e32 v75, 63, v32
	v_lshrrev_b32_e32 v76, 3, v32
	v_add_u32_e32 v32, v32, v86
	v_add_u32_e32 v77, s5, v61
	v_and_b32_e32 v61, 0x1f8, v73
	v_add_u32_e32 v88, s5, v60
	v_add_u32_e32 v60, s5, v72
	v_lshl_add_u32 v78, v75, 3, 0
	v_and_b32_e32 v72, 0x1f8, v76
	v_lshrrev_b32_e32 v73, 9, v32
	v_and_b32_e32 v75, 63, v32
	v_add_u32_e32 v76, s5, v61
	v_add_u32_e32 v80, s5, v72
	v_and_b32_e32 v79, 0x1f8, v73
	v_lshl_add_u32 v82, v75, 3, 0
	ds_read_b64 v[60:61], v60 offset:512
	ds_read_b64 v[72:73], v76 offset:1024
	;; [unrolled: 1-line block ×4, first 2 shown]
	v_add_u32_e32 v84, s5, v79
	v_lshrrev_b32_e32 v32, 3, v32
	ds_read_b64 v[78:79], v78 offset:15360
	ds_read_b64 v[80:81], v80 offset:512
	;; [unrolled: 1-line block ×4, first 2 shown]
	v_and_b32_e32 v32, 0x1f8, v32
	v_add_u32_e32 v89, s5, v32
	s_waitcnt lgkmcnt(5)
	v_mul_f32_e32 v32, v75, v61
	v_mul_f32_e32 v90, v74, v61
	v_fma_f32 v32, v74, v60, -v32
	v_fmac_f32_e32 v90, v75, v60
	s_waitcnt lgkmcnt(2)
	v_mul_f32_e32 v74, v78, v80
	v_pk_mul_f32 v[60:61], v[78:79], v[80:81] op_sel:[1,0] op_sel_hi:[0,1]
	v_mul_f32_e32 v75, v90, v77
	v_fma_f32 v74, -v79, v81, v74
	v_add_f32_e32 v61, v60, v61
	v_mul_f32_e32 v80, v32, v77
	v_fma_f32 v81, v76, v32, -v75
	v_mul_f32_e32 v60, v61, v73
	v_mul_f32_e32 v32, v74, v73
	v_fmac_f32_e32 v80, v76, v90
	v_fma_f32 v60, v72, v74, -v60
	v_fmac_f32_e32 v32, v72, v61
	s_movk_i32 s3, 0x78
	s_waitcnt vmcnt(1)
	v_pk_mul_f32 v[72:73], v[68:69], v[14:15] op_sel:[0,1]
	v_pk_mul_f32 v[74:75], v[66:67], v[6:7] op_sel:[0,1]
	s_waitcnt vmcnt(0)
	v_pk_mul_f32 v[76:77], v[70:71], v[10:11] op_sel:[0,1]
	v_pk_fma_f32 v[78:79], v[68:69], v[14:15], v[72:73] op_sel:[0,0,1] op_sel_hi:[1,1,0] neg_lo:[0,0,1] neg_hi:[0,0,1]
	v_pk_fma_f32 v[14:15], v[68:69], v[14:15], v[72:73] op_sel:[0,0,1] op_sel_hi:[1,0,0]
	v_pk_fma_f32 v[68:69], v[66:67], v[6:7], v[74:75] op_sel:[0,0,1] op_sel_hi:[1,1,0] neg_lo:[0,0,1] neg_hi:[0,0,1]
	v_pk_fma_f32 v[6:7], v[66:67], v[6:7], v[74:75] op_sel:[0,0,1] op_sel_hi:[1,0,0]
	v_pk_fma_f32 v[66:67], v[70:71], v[10:11], v[76:77] op_sel:[0,0,1] op_sel_hi:[1,1,0] neg_lo:[0,0,1] neg_hi:[0,0,1]
	v_pk_fma_f32 v[10:11], v[70:71], v[10:11], v[76:77] op_sel:[0,0,1] op_sel_hi:[1,0,0]
	v_mov_b32_e32 v79, v15
	v_mov_b32_e32 v69, v7
	v_mov_b32_e32 v67, v11
	v_pk_add_f32 v[70:71], v[58:59], v[78:79] neg_lo:[0,1] neg_hi:[0,1]
	v_pk_add_f32 v[6:7], v[68:69], v[66:67] neg_lo:[0,1] neg_hi:[0,1]
	v_pk_fma_f32 v[66:67], v[58:59], 2.0, v[70:71] op_sel_hi:[1,0,1] neg_lo:[0,0,1] neg_hi:[0,0,1]
	v_sub_f32_e32 v76, v70, v7
	v_pk_fma_f32 v[10:11], v[68:69], 2.0, v[6:7] op_sel_hi:[1,0,1] neg_lo:[0,0,1] neg_hi:[0,0,1]
	v_add_f32_e32 v14, v71, v6
	v_mul_f32_e32 v7, v76, v80
	v_pk_add_f32 v[68:69], v[66:67], v[10:11] neg_lo:[0,1] neg_hi:[0,1]
	v_mul_f32_e32 v6, v14, v80
	v_fma_f32 v71, v71, 2.0, -v14
	v_fmac_f32_e32 v7, v14, v81
	v_pk_mul_f32 v[14:15], v[68:69], v[32:33] op_sel_hi:[1,0]
	ds_read_b64 v[58:59], v89 offset:512
	v_pk_fma_f32 v[10:11], v[68:69], v[60:61], v[14:15] op_sel:[0,0,1] op_sel_hi:[1,1,0] neg_lo:[0,0,1] neg_hi:[0,0,1]
	v_pk_fma_f32 v[14:15], v[68:69], v[60:61], v[14:15] op_sel:[0,0,1] op_sel_hi:[1,0,0]
	v_and_b32_e32 v11, 63, v87
	v_lshrrev_b32_e32 v14, 3, v87
	v_and_b32_e32 v14, 0x1f8, v14
	v_add_u32_e32 v14, s5, v14
	v_lshl_add_u32 v11, v11, 3, 0
	ds_read_b64 v[60:61], v88 offset:1024
	ds_read_b64 v[72:73], v11 offset:15360
	;; [unrolled: 1-line block ×3, first 2 shown]
	s_waitcnt lgkmcnt(3)
	v_mul_f32_e32 v14, v82, v59
	v_mul_f32_e32 v11, v83, v59
	v_fmac_f32_e32 v14, v83, v58
	v_fma_f32 v11, v82, v58, -v11
	v_mul_f32_e32 v32, v14, v85
	v_fma_f32 v32, v84, v11, -v32
	v_mul_f32_e32 v11, v11, v85
	v_fma_f32 v58, v70, 2.0, -v76
	v_fmac_f32_e32 v11, v84, v14
	v_mul_f32_e32 v59, v58, v11
	v_mul_f32_e32 v11, v71, v11
	v_fmac_f32_e32 v59, v71, v32
	v_fma_f32 v58, v58, v32, -v11
	s_waitcnt lgkmcnt(0)
	v_mul_f32_e32 v32, v72, v75
	v_mul_f32_e32 v14, v73, v75
	v_fmac_f32_e32 v32, v73, v74
	v_fma_f32 v11, v67, 2.0, -v69
	v_fma_f32 v14, v72, v74, -v14
	v_mul_f32_e32 v67, v32, v61
	v_fma_f32 v67, v60, v14, -v67
	v_mul_f32_e32 v14, v14, v61
	v_fma_f32 v66, v66, 2.0, -v68
	v_fmac_f32_e32 v14, v60, v32
	v_mul_f32_e32 v61, v66, v14
	v_add_u32_e32 v87, 0x78, v62
	v_fmac_f32_e32 v61, v11, v67
	v_mul_f32_e32 v11, v11, v14
	v_mul_lo_u32 v14, v87, v16
	v_fma_f32 v60, v66, v67, -v11
	v_and_b32_e32 v66, 63, v14
	v_mul_u32_u24_e32 v11, 3, v62
	v_lshl_add_u32 v74, v66, 3, 0
	v_lshrrev_b32_e32 v66, 3, v14
	v_lshlrev_b32_e32 v11, 3, v11
	v_and_b32_e32 v66, 0x1f8, v66
	v_fma_f32 v6, v76, v81, -v6
	v_add_u32_e32 v76, s5, v66
	global_load_dwordx2 v[70:71], v11, s[24:25] offset:304
	global_load_dwordx4 v[66:69], v11, s[24:25] offset:288
	v_lshrrev_b32_e32 v32, 9, v14
	v_and_b32_e32 v32, 0x1f8, v32
	v_add_u32_e32 v32, s5, v32
	ds_read_b64 v[72:73], v32 offset:1024
	ds_read_b64 v[74:75], v74 offset:15360
	;; [unrolled: 1-line block ×3, first 2 shown]
	v_add_u32_e32 v14, v14, v86
	v_lshrrev_b32_e32 v11, 9, v14
	v_and_b32_e32 v11, 0x1f8, v11
	v_add_u32_e32 v11, s5, v11
	s_waitcnt lgkmcnt(0)
	v_mul_f32_e32 v32, v74, v77
	ds_read_b64 v[78:79], v11 offset:1024
	v_mul_f32_e32 v11, v75, v77
	v_fmac_f32_e32 v32, v75, v76
	v_fma_f32 v11, v74, v76, -v11
	v_mul_f32_e32 v74, v32, v73
	v_fma_f32 v88, v72, v11, -v74
	v_mul_f32_e32 v11, v11, v73
	v_fmac_f32_e32 v11, v72, v32
	v_lshrrev_b32_e32 v72, 3, v14
	v_and_b32_e32 v32, 63, v14
	v_and_b32_e32 v72, 0x1f8, v72
	v_lshl_add_u32 v32, v32, 3, 0
	v_add_u32_e32 v74, s5, v72
	ds_read_b64 v[72:73], v32 offset:15360
	ds_read_b64 v[74:75], v74 offset:512
	v_add_u32_e32 v82, v14, v86
	v_lshrrev_b32_e32 v14, 9, v82
	v_and_b32_e32 v14, 0x1f8, v14
	v_add_u32_e32 v14, s5, v14
	v_and_b32_e32 v32, 63, v82
	v_lshl_add_u32 v32, v32, 3, 0
	ds_read_b64 v[76:77], v14 offset:1024
	ds_read_b64 v[80:81], v32 offset:15360
	s_waitcnt lgkmcnt(2)
	v_mul_f32_e32 v14, v72, v74
	v_fma_f32 v32, -v73, v75, v14
	v_pk_mul_f32 v[72:73], v[72:73], v[74:75] op_sel:[1,0] op_sel_hi:[0,1]
	v_add_f32_e32 v73, v72, v73
	v_mul_f32_e32 v14, v73, v79
	v_fma_f32 v14, v78, v32, -v14
	v_mul_f32_e32 v72, v32, v79
	v_lshrrev_b32_e32 v32, 3, v82
	v_and_b32_e32 v32, 0x1f8, v32
	v_mul_lo_u32 v16, v62, v16
	v_add_u32_e32 v32, s5, v32
	v_and_b32_e32 v74, 63, v16
	v_lshl_add_u32 v82, v74, 3, 0
	ds_read_b64 v[74:75], v32 offset:512
	v_fmac_f32_e32 v72, v78, v73
	v_lshrrev_b32_e32 v73, 9, v16
	v_and_b32_e32 v73, 0x1f8, v73
	v_lshrrev_b32_e32 v16, 3, v16
	v_add_u32_e32 v73, s5, v73
	v_and_b32_e32 v16, 0x1f8, v16
	v_add_u32_e32 v16, s5, v16
	ds_read_b64 v[78:79], v73 offset:1024
	ds_read_b64 v[82:83], v82 offset:15360
	;; [unrolled: 1-line block ×3, first 2 shown]
	s_waitcnt lgkmcnt(3)
	v_mul_f32_e32 v32, v80, v75
	v_mul_f32_e32 v16, v81, v75
	v_fmac_f32_e32 v32, v81, v74
	v_fma_f32 v16, v80, v74, -v16
	v_mul_f32_e32 v73, v32, v77
	v_fma_f32 v73, v76, v16, -v73
	v_mul_f32_e32 v16, v16, v77
	v_fmac_f32_e32 v16, v76, v32
	v_mul_lo_u32 v32, s16, v62
	v_add3_u32 v32, v22, v32, s2
	s_waitcnt lgkmcnt(0)
	v_mul_f32_e32 v76, v82, v85
	v_lshl_add_u64 v[74:75], v[32:33], 3, s[14:15]
	v_mul_f32_e32 v32, v83, v85
	v_fmac_f32_e32 v76, v84, v83
	v_fma_f32 v32, v82, v84, -v32
	v_mul_f32_e32 v77, v79, v76
	v_fma_f32 v84, v78, v32, -v77
	v_mul_f32_e32 v85, v79, v32
	v_mul_lo_u32 v32, s16, v64
	v_add3_u32 v32, v22, v32, s2
	v_fmac_f32_e32 v85, v78, v76
	v_lshl_add_u64 v[76:77], v[32:33], 3, s[14:15]
	v_add_u32_e32 v32, 0x50, v62
	v_mul_lo_u32 v32, s16, v32
	v_add3_u32 v32, v22, v32, s2
	v_lshl_add_u64 v[78:79], v[32:33], 3, s[14:15]
	s_waitcnt vmcnt(0)
	v_mov_b32_e32 v80, v69
	v_mov_b32_e32 v81, v68
	v_pk_mul_f32 v[80:81], v[80:81], v[12:13] op_sel:[0,1]
	s_nop 0
	v_pk_fma_f32 v[82:83], v[68:69], v[12:13], v[80:81] neg_lo:[0,0,1] neg_hi:[0,0,1]
	v_pk_fma_f32 v[12:13], v[68:69], v[12:13], v[80:81] op_sel_hi:[1,0,1]
	v_pk_mul_f32 v[68:69], v[66:67], v[4:5] op_sel:[0,1]
	v_mov_b32_e32 v83, v13
	v_pk_fma_f32 v[80:81], v[66:67], v[4:5], v[68:69] op_sel:[0,0,1] op_sel_hi:[1,1,0] neg_lo:[0,0,1] neg_hi:[0,0,1]
	v_pk_fma_f32 v[4:5], v[66:67], v[4:5], v[68:69] op_sel:[0,0,1] op_sel_hi:[1,0,0]
	v_pk_add_f32 v[12:13], v[30:31], v[82:83] neg_lo:[0,1] neg_hi:[0,1]
	v_mov_b32_e32 v81, v5
	v_pk_mul_f32 v[4:5], v[70:71], v[8:9] op_sel:[0,1]
	v_pk_fma_f32 v[30:31], v[30:31], 2.0, v[12:13] op_sel_hi:[1,0,1] neg_lo:[0,0,1] neg_hi:[0,0,1]
	v_pk_fma_f32 v[66:67], v[70:71], v[8:9], v[4:5] op_sel:[0,0,1] op_sel_hi:[1,1,0] neg_lo:[0,0,1] neg_hi:[0,0,1]
	v_pk_fma_f32 v[4:5], v[70:71], v[8:9], v[4:5] op_sel:[0,0,1] op_sel_hi:[1,0,0]
	s_nop 0
	v_mov_b32_e32 v67, v5
	v_pk_add_f32 v[4:5], v[80:81], v[66:67] neg_lo:[0,1] neg_hi:[0,1]
	s_nop 0
	v_add_f32_e32 v32, v13, v4
	v_sub_f32_e32 v62, v12, v5
	v_pk_fma_f32 v[4:5], v[80:81], 2.0, v[4:5] op_sel_hi:[1,0,1] neg_lo:[0,0,1] neg_hi:[0,0,1]
	v_fma_f32 v12, v12, 2.0, -v62
	v_pk_add_f32 v[4:5], v[30:31], v[4:5] neg_lo:[0,1] neg_hi:[0,1]
	v_mul_f32_e32 v9, v62, v11
	v_mul_f32_e32 v8, v32, v11
	v_pk_mul_f32 v[66:67], v[4:5], v[72:73] op_sel_hi:[1,0]
	v_fma_f32 v11, v13, 2.0, -v32
	v_mul_f32_e32 v13, v12, v16
	v_pk_fma_f32 v[68:69], v[4:5], v[14:15], v[66:67] op_sel:[0,0,1] op_sel_hi:[1,1,0] neg_lo:[0,0,1] neg_hi:[0,0,1]
	v_pk_fma_f32 v[66:67], v[4:5], v[14:15], v[66:67] op_sel:[0,0,1] op_sel_hi:[1,0,0]
	v_fmac_f32_e32 v13, v11, v73
	v_mul_f32_e32 v11, v11, v16
	v_fma_f32 v4, v30, 2.0, -v4
	v_fma_f32 v12, v12, v73, -v11
	v_fma_f32 v11, v31, 2.0, -v5
	v_mul_f32_e32 v5, v4, v85
	v_fmac_f32_e32 v5, v11, v84
	v_mul_f32_e32 v11, v11, v85
	v_fma_f32 v4, v4, v84, -v11
	global_store_dwordx2 v[74:75], v[4:5], off
	global_store_dwordx2 v[76:77], v[12:13], off
	v_mul_lo_u32 v4, s16, v87
	v_fmac_f32_e32 v9, v32, v88
	v_add3_u32 v32, v22, v4, s2
	v_fma_f32 v8, v62, v88, -v8
	v_mov_b32_e32 v69, v67
	v_lshl_add_u64 v[4:5], v[32:33], 3, s[14:15]
	global_store_dwordx2 v[78:79], v[68:69], off
	global_store_dwordx2 v[4:5], v[8:9], off
	v_mad_u32_u24 v8, v23, s3, v63
	v_mul_lo_u32 v4, s16, v8
	v_add3_u32 v32, v22, v4, s2
	v_lshl_add_u64 v[4:5], v[32:33], 3, s[14:15]
	global_store_dwordx2 v[4:5], v[60:61], off
	v_add_u32_e32 v4, 40, v8
	v_mul_lo_u32 v4, s16, v4
	v_add3_u32 v32, v22, v4, s2
	v_lshl_add_u64 v[4:5], v[32:33], 3, s[14:15]
	global_store_dwordx2 v[4:5], v[58:59], off
	v_add_u32_e32 v4, 0x50, v8
	v_mul_lo_u32 v4, s16, v4
	v_add3_u32 v32, v22, v4, s2
	v_lshl_add_u64 v[4:5], v[32:33], 3, s[14:15]
	v_mov_b32_e32 v11, v15
	global_store_dwordx2 v[4:5], v[10:11], off
	v_add_u32_e32 v4, 0x78, v8
	v_mul_lo_u32 v4, s16, v4
	v_add3_u32 v32, v22, v4, s2
	v_lshl_add_u64 v[4:5], v[32:33], 3, s[14:15]
	global_store_dwordx2 v[4:5], v[6:7], off
	s_or_b64 exec, exec, s[0:1]
	s_and_saveexec_b64 s[0:1], vcc
	s_cbranch_execz .LBB0_46
.LBB0_48:
	s_waitcnt lgkmcnt(10)
	v_mul_f32_e32 v5, v42, v45
	v_mul_f32_e32 v4, v43, v45
	v_fmac_f32_e32 v5, v43, v44
	v_fma_f32 v4, v42, v44, -v4
	s_waitcnt lgkmcnt(9)
	v_mul_f32_e32 v6, v5, v37
	v_fma_f32 v7, v36, v4, -v6
	v_mul_f32_e32 v14, v4, v37
	s_waitcnt lgkmcnt(7)
	v_mul_f32_e32 v4, v35, v53
	v_fmac_f32_e32 v14, v36, v5
	v_fma_f32 v4, v34, v52, -v4
	v_mul_f32_e32 v5, v34, v53
	v_fmac_f32_e32 v5, v35, v52
	s_waitcnt lgkmcnt(6)
	v_mul_f32_e32 v16, v4, v49
	v_mul_f32_e32 v6, v5, v49
	v_fmac_f32_e32 v16, v48, v5
	s_waitcnt lgkmcnt(4)
	v_mul_f32_e32 v5, v38, v41
	v_mov_b32_e32 v8, v27
	s_waitcnt vmcnt(0)
	v_pk_mul_f32 v[10:11], v[26:27], v[0:1] op_sel_hi:[0,1]
	v_fma_f32 v15, v48, v4, -v6
	v_mul_f32_e32 v4, v39, v41
	v_fmac_f32_e32 v5, v39, v40
	v_pk_fma_f32 v[12:13], v[8:9], v[0:1], v[10:11] op_sel:[0,0,1] op_sel_hi:[0,1,0]
	v_pk_fma_f32 v[0:1], v[8:9], v[0:1], v[10:11] op_sel:[0,0,1] op_sel_hi:[0,1,0] neg_lo:[1,0,0] neg_hi:[1,0,0]
	v_pk_mul_f32 v[8:9], v[20:21], v[2:3] op_sel:[1,0]
	v_fma_f32 v4, v38, v40, -v4
	s_waitcnt lgkmcnt(3)
	v_mul_f32_e32 v6, v5, v57
	v_pk_fma_f32 v[10:11], v[18:19], v[2:3], v[8:9] op_sel:[0,0,1] op_sel_hi:[1,1,0] neg_lo:[0,0,1] neg_hi:[0,0,1]
	v_pk_fma_f32 v[2:3], v[18:19], v[2:3], v[8:9] op_sel:[0,0,1] op_sel_hi:[0,1,0]
	v_fma_f32 v23, v56, v4, -v6
	v_mul_f32_e32 v30, v4, v57
	s_waitcnt lgkmcnt(1)
	v_mul_f32_e32 v4, v50, v54
	v_mov_b32_e32 v11, v3
	v_pk_mul_f32 v[2:3], v[18:19], v[28:29] op_sel:[1,0]
	v_fmac_f32_e32 v30, v56, v5
	v_fma_f32 v6, -v51, v55, v4
	v_pk_mul_f32 v[4:5], v[50:51], v[54:55] op_sel:[1,0] op_sel_hi:[0,1]
	v_pk_fma_f32 v[8:9], v[20:21], v[28:29], v[2:3] op_sel:[0,0,1] op_sel_hi:[1,1,0]
	v_pk_fma_f32 v[2:3], v[20:21], v[28:29], v[2:3] op_sel:[0,0,1] op_sel_hi:[0,1,0] neg_lo:[1,0,0] neg_hi:[1,0,0]
	v_add_f32_e32 v5, v4, v5
	v_mov_b32_e32 v13, v1
	v_mov_b32_e32 v9, v3
	s_waitcnt lgkmcnt(0)
	v_mul_f32_e32 v4, v5, v47
	v_pk_add_f32 v[2:3], v[24:25], v[10:11] neg_lo:[0,1] neg_hi:[0,1]
	v_pk_add_f32 v[8:9], v[12:13], v[8:9] neg_lo:[0,1] neg_hi:[0,1]
	v_fma_f32 v4, v46, v6, -v4
	v_mul_f32_e32 v6, v6, v47
	v_fma_f32 v0, v24, 2.0, -v2
	v_fma_f32 v1, v1, 2.0, -v9
	v_fmac_f32_e32 v6, v46, v5
	v_fma_f32 v5, v25, 2.0, -v3
	v_fma_f32 v10, v12, 2.0, -v8
	v_sub_f32_e32 v13, v0, v1
	v_sub_f32_e32 v18, v5, v10
	v_fma_f32 v10, v0, 2.0, -v13
	v_pk_add_f32 v[0:1], v[2:3], v[8:9] neg_lo:[0,1] neg_hi:[0,1]
	v_pk_add_f32 v[8:9], v[2:3], v[8:9]
	v_fma_f32 v5, v5, 2.0, -v18
	v_fma_f32 v12, v3, 2.0, -v9
	v_mul_f32_e32 v3, v10, v14
	v_fma_f32 v11, v2, 2.0, -v0
	v_mul_f32_e32 v2, v5, v14
	v_fmac_f32_e32 v3, v5, v7
	v_mul_f32_e32 v5, v12, v16
	v_fma_f32 v2, v10, v7, -v2
	v_fma_f32 v10, v11, v15, -v5
	v_mul_f32_e32 v11, v11, v16
	v_fmac_f32_e32 v11, v12, v15
	v_mov_b32_e32 v14, v9
	v_mov_b32_e32 v15, v0
	v_mul_f32_e32 v5, v18, v30
	v_pk_mul_f32 v[6:7], v[14:15], v[6:7] op_sel_hi:[1,0]
	v_mov_b32_e32 v8, v0
	v_pk_fma_f32 v[0:1], v[0:1], v[4:5], v[6:7] neg_lo:[0,0,1] neg_hi:[0,0,1]
	s_movk_i32 s0, 0x78
	v_fma_f32 v12, v13, v23, -v5
	v_pk_fma_f32 v[4:5], v[8:9], v[4:5], v[6:7] op_sel_hi:[1,0,1]
	v_mad_u32_u24 v1, v65, s0, v17
	v_mul_lo_u32 v4, s16, v1
	v_add3_u32 v6, v22, v4, s2
	v_mov_b32_e32 v7, 0
	v_lshl_add_u64 v[8:9], v[6:7], 3, s[14:15]
	global_store_dwordx2 v[8:9], v[2:3], off
	v_add_u32_e32 v2, 40, v1
	v_mul_lo_u32 v2, s16, v2
	v_add3_u32 v6, v22, v2, s2
	v_lshl_add_u64 v[2:3], v[6:7], 3, s[14:15]
	global_store_dwordx2 v[2:3], v[10:11], off
	v_add_u32_e32 v2, 0x50, v1
	v_mul_lo_u32 v2, s16, v2
	v_add_u32_e32 v1, 0x78, v1
	v_mul_f32_e32 v13, v13, v30
	v_add3_u32 v6, v22, v2, s2
	v_mul_lo_u32 v1, s16, v1
	v_fmac_f32_e32 v13, v18, v23
	v_lshl_add_u64 v[2:3], v[6:7], 3, s[14:15]
	v_add3_u32 v6, v22, v1, s2
	global_store_dwordx2 v[2:3], v[12:13], off
	v_lshl_add_u64 v[2:3], v[6:7], 3, s[14:15]
	v_mov_b32_e32 v1, v5
	global_store_dwordx2 v[2:3], v[0:1], off
	s_endpgm
	.section	.rodata,"a",@progbits
	.p2align	6, 0x0
	.amdhsa_kernel fft_rtc_fwd_len160_factors_4_10_4_wgs_192_tpt_16_sp_op_CI_CI_sbcc_twdbase6_3step_dirReg_intrinsicReadWrite
		.amdhsa_group_segment_fixed_size 0
		.amdhsa_private_segment_fixed_size 0
		.amdhsa_kernarg_size 112
		.amdhsa_user_sgpr_count 2
		.amdhsa_user_sgpr_dispatch_ptr 0
		.amdhsa_user_sgpr_queue_ptr 0
		.amdhsa_user_sgpr_kernarg_segment_ptr 1
		.amdhsa_user_sgpr_dispatch_id 0
		.amdhsa_user_sgpr_kernarg_preload_length 0
		.amdhsa_user_sgpr_kernarg_preload_offset 0
		.amdhsa_user_sgpr_private_segment_size 0
		.amdhsa_uses_dynamic_stack 0
		.amdhsa_enable_private_segment 0
		.amdhsa_system_sgpr_workgroup_id_x 1
		.amdhsa_system_sgpr_workgroup_id_y 0
		.amdhsa_system_sgpr_workgroup_id_z 0
		.amdhsa_system_sgpr_workgroup_info 0
		.amdhsa_system_vgpr_workitem_id 0
		.amdhsa_next_free_vgpr 91
		.amdhsa_next_free_sgpr 51
		.amdhsa_accum_offset 92
		.amdhsa_reserve_vcc 1
		.amdhsa_float_round_mode_32 0
		.amdhsa_float_round_mode_16_64 0
		.amdhsa_float_denorm_mode_32 3
		.amdhsa_float_denorm_mode_16_64 3
		.amdhsa_dx10_clamp 1
		.amdhsa_ieee_mode 1
		.amdhsa_fp16_overflow 0
		.amdhsa_tg_split 0
		.amdhsa_exception_fp_ieee_invalid_op 0
		.amdhsa_exception_fp_denorm_src 0
		.amdhsa_exception_fp_ieee_div_zero 0
		.amdhsa_exception_fp_ieee_overflow 0
		.amdhsa_exception_fp_ieee_underflow 0
		.amdhsa_exception_fp_ieee_inexact 0
		.amdhsa_exception_int_div_zero 0
	.end_amdhsa_kernel
	.text
.Lfunc_end0:
	.size	fft_rtc_fwd_len160_factors_4_10_4_wgs_192_tpt_16_sp_op_CI_CI_sbcc_twdbase6_3step_dirReg_intrinsicReadWrite, .Lfunc_end0-fft_rtc_fwd_len160_factors_4_10_4_wgs_192_tpt_16_sp_op_CI_CI_sbcc_twdbase6_3step_dirReg_intrinsicReadWrite
                                        ; -- End function
	.section	.AMDGPU.csdata,"",@progbits
; Kernel info:
; codeLenInByte = 7404
; NumSgprs: 57
; NumVgprs: 91
; NumAgprs: 0
; TotalNumVgprs: 91
; ScratchSize: 0
; MemoryBound: 0
; FloatMode: 240
; IeeeMode: 1
; LDSByteSize: 0 bytes/workgroup (compile time only)
; SGPRBlocks: 7
; VGPRBlocks: 11
; NumSGPRsForWavesPerEU: 57
; NumVGPRsForWavesPerEU: 91
; AccumOffset: 92
; Occupancy: 5
; WaveLimiterHint : 1
; COMPUTE_PGM_RSRC2:SCRATCH_EN: 0
; COMPUTE_PGM_RSRC2:USER_SGPR: 2
; COMPUTE_PGM_RSRC2:TRAP_HANDLER: 0
; COMPUTE_PGM_RSRC2:TGID_X_EN: 1
; COMPUTE_PGM_RSRC2:TGID_Y_EN: 0
; COMPUTE_PGM_RSRC2:TGID_Z_EN: 0
; COMPUTE_PGM_RSRC2:TIDIG_COMP_CNT: 0
; COMPUTE_PGM_RSRC3_GFX90A:ACCUM_OFFSET: 22
; COMPUTE_PGM_RSRC3_GFX90A:TG_SPLIT: 0
	.text
	.p2alignl 6, 3212836864
	.fill 256, 4, 3212836864
	.type	__hip_cuid_4277ec1f777bbc30,@object ; @__hip_cuid_4277ec1f777bbc30
	.section	.bss,"aw",@nobits
	.globl	__hip_cuid_4277ec1f777bbc30
__hip_cuid_4277ec1f777bbc30:
	.byte	0                               ; 0x0
	.size	__hip_cuid_4277ec1f777bbc30, 1

	.ident	"AMD clang version 19.0.0git (https://github.com/RadeonOpenCompute/llvm-project roc-6.4.0 25133 c7fe45cf4b819c5991fe208aaa96edf142730f1d)"
	.section	".note.GNU-stack","",@progbits
	.addrsig
	.addrsig_sym __hip_cuid_4277ec1f777bbc30
	.amdgpu_metadata
---
amdhsa.kernels:
  - .agpr_count:     0
    .args:
      - .actual_access:  read_only
        .address_space:  global
        .offset:         0
        .size:           8
        .value_kind:     global_buffer
      - .address_space:  global
        .offset:         8
        .size:           8
        .value_kind:     global_buffer
      - .offset:         16
        .size:           8
        .value_kind:     by_value
      - .actual_access:  read_only
        .address_space:  global
        .offset:         24
        .size:           8
        .value_kind:     global_buffer
      - .actual_access:  read_only
        .address_space:  global
        .offset:         32
        .size:           8
        .value_kind:     global_buffer
      - .actual_access:  read_only
        .address_space:  global
        .offset:         40
        .size:           8
        .value_kind:     global_buffer
      - .offset:         48
        .size:           8
        .value_kind:     by_value
      - .actual_access:  read_only
        .address_space:  global
        .offset:         56
        .size:           8
        .value_kind:     global_buffer
      - .actual_access:  read_only
        .address_space:  global
        .offset:         64
        .size:           8
        .value_kind:     global_buffer
      - .offset:         72
        .size:           4
        .value_kind:     by_value
      - .actual_access:  read_only
        .address_space:  global
        .offset:         80
        .size:           8
        .value_kind:     global_buffer
      - .actual_access:  read_only
        .address_space:  global
        .offset:         88
        .size:           8
        .value_kind:     global_buffer
      - .actual_access:  read_only
        .address_space:  global
        .offset:         96
        .size:           8
        .value_kind:     global_buffer
      - .actual_access:  write_only
        .address_space:  global
        .offset:         104
        .size:           8
        .value_kind:     global_buffer
    .group_segment_fixed_size: 0
    .kernarg_segment_align: 8
    .kernarg_segment_size: 112
    .language:       OpenCL C
    .language_version:
      - 2
      - 0
    .max_flat_workgroup_size: 192
    .name:           fft_rtc_fwd_len160_factors_4_10_4_wgs_192_tpt_16_sp_op_CI_CI_sbcc_twdbase6_3step_dirReg_intrinsicReadWrite
    .private_segment_fixed_size: 0
    .sgpr_count:     57
    .sgpr_spill_count: 0
    .symbol:         fft_rtc_fwd_len160_factors_4_10_4_wgs_192_tpt_16_sp_op_CI_CI_sbcc_twdbase6_3step_dirReg_intrinsicReadWrite.kd
    .uniform_work_group_size: 1
    .uses_dynamic_stack: false
    .vgpr_count:     91
    .vgpr_spill_count: 0
    .wavefront_size: 64
amdhsa.target:   amdgcn-amd-amdhsa--gfx950
amdhsa.version:
  - 1
  - 2
...

	.end_amdgpu_metadata
